;; amdgpu-corpus repo=ROCm/rocFFT kind=compiled arch=gfx1030 opt=O3
	.text
	.amdgcn_target "amdgcn-amd-amdhsa--gfx1030"
	.amdhsa_code_object_version 6
	.protected	fft_rtc_fwd_len462_factors_11_6_7_wgs_231_tpt_77_half_op_CI_CI_unitstride_sbrr_R2C_dirReg ; -- Begin function fft_rtc_fwd_len462_factors_11_6_7_wgs_231_tpt_77_half_op_CI_CI_unitstride_sbrr_R2C_dirReg
	.globl	fft_rtc_fwd_len462_factors_11_6_7_wgs_231_tpt_77_half_op_CI_CI_unitstride_sbrr_R2C_dirReg
	.p2align	8
	.type	fft_rtc_fwd_len462_factors_11_6_7_wgs_231_tpt_77_half_op_CI_CI_unitstride_sbrr_R2C_dirReg,@function
fft_rtc_fwd_len462_factors_11_6_7_wgs_231_tpt_77_half_op_CI_CI_unitstride_sbrr_R2C_dirReg: ; @fft_rtc_fwd_len462_factors_11_6_7_wgs_231_tpt_77_half_op_CI_CI_unitstride_sbrr_R2C_dirReg
; %bb.0:
	s_load_dwordx4 s[12:15], s[4:5], 0x0
	v_mul_u32_u24_e32 v1, 0x354, v0
	s_clause 0x1
	s_load_dwordx4 s[8:11], s[4:5], 0x58
	s_load_dwordx4 s[16:19], s[4:5], 0x18
	v_mov_b32_e32 v10, 0
	v_mov_b32_e32 v6, 0
	;; [unrolled: 1-line block ×3, first 2 shown]
	v_lshrrev_b32_e32 v1, 16, v1
	v_mad_u64_u32 v[8:9], null, s6, 3, v[1:2]
	v_mov_b32_e32 v9, v10
	v_mov_b32_e32 v1, v6
	;; [unrolled: 1-line block ×4, first 2 shown]
	s_waitcnt lgkmcnt(0)
	v_cmp_lt_u64_e64 s0, s[14:15], 2
	v_mov_b32_e32 v4, v9
	s_and_b32 vcc_lo, exec_lo, s0
	s_cbranch_vccnz .LBB0_8
; %bb.1:
	s_load_dwordx2 s[0:1], s[4:5], 0x10
	v_mov_b32_e32 v6, 0
	v_mov_b32_e32 v7, 0
	s_add_u32 s2, s18, 8
	v_mov_b32_e32 v13, v9
	s_addc_u32 s3, s19, 0
	v_mov_b32_e32 v1, v6
	v_mov_b32_e32 v12, v8
	s_add_u32 s6, s16, 8
	v_mov_b32_e32 v2, v7
	s_addc_u32 s7, s17, 0
	s_mov_b64 s[22:23], 1
	s_waitcnt lgkmcnt(0)
	s_add_u32 s20, s0, 8
	s_addc_u32 s21, s1, 0
.LBB0_2:                                ; =>This Inner Loop Header: Depth=1
	s_load_dwordx2 s[24:25], s[20:21], 0x0
                                        ; implicit-def: $vgpr3_vgpr4
	s_mov_b32 s0, exec_lo
	s_waitcnt lgkmcnt(0)
	v_or_b32_e32 v11, s25, v13
	v_cmpx_ne_u64_e32 0, v[10:11]
	s_xor_b32 s1, exec_lo, s0
	s_cbranch_execz .LBB0_4
; %bb.3:                                ;   in Loop: Header=BB0_2 Depth=1
	v_cvt_f32_u32_e32 v3, s24
	v_cvt_f32_u32_e32 v4, s25
	s_sub_u32 s0, 0, s24
	s_subb_u32 s26, 0, s25
	v_fmac_f32_e32 v3, 0x4f800000, v4
	v_rcp_f32_e32 v3, v3
	v_mul_f32_e32 v3, 0x5f7ffffc, v3
	v_mul_f32_e32 v4, 0x2f800000, v3
	v_trunc_f32_e32 v4, v4
	v_fmac_f32_e32 v3, 0xcf800000, v4
	v_cvt_u32_f32_e32 v4, v4
	v_cvt_u32_f32_e32 v3, v3
	v_mul_lo_u32 v5, s0, v4
	v_mul_hi_u32 v9, s0, v3
	v_mul_lo_u32 v11, s26, v3
	v_add_nc_u32_e32 v5, v9, v5
	v_mul_lo_u32 v9, s0, v3
	v_add_nc_u32_e32 v5, v5, v11
	v_mul_hi_u32 v11, v3, v9
	v_mul_lo_u32 v14, v3, v5
	v_mul_hi_u32 v15, v3, v5
	v_mul_hi_u32 v16, v4, v9
	v_mul_lo_u32 v9, v4, v9
	v_mul_hi_u32 v17, v4, v5
	v_mul_lo_u32 v5, v4, v5
	v_add_co_u32 v11, vcc_lo, v11, v14
	v_add_co_ci_u32_e32 v14, vcc_lo, 0, v15, vcc_lo
	v_add_co_u32 v9, vcc_lo, v11, v9
	v_add_co_ci_u32_e32 v9, vcc_lo, v14, v16, vcc_lo
	v_add_co_ci_u32_e32 v11, vcc_lo, 0, v17, vcc_lo
	v_add_co_u32 v5, vcc_lo, v9, v5
	v_add_co_ci_u32_e32 v9, vcc_lo, 0, v11, vcc_lo
	v_add_co_u32 v3, vcc_lo, v3, v5
	v_add_co_ci_u32_e32 v4, vcc_lo, v4, v9, vcc_lo
	v_mul_hi_u32 v5, s0, v3
	v_mul_lo_u32 v11, s26, v3
	v_mul_lo_u32 v9, s0, v4
	v_add_nc_u32_e32 v5, v5, v9
	v_mul_lo_u32 v9, s0, v3
	v_add_nc_u32_e32 v5, v5, v11
	v_mul_hi_u32 v11, v3, v9
	v_mul_lo_u32 v14, v3, v5
	v_mul_hi_u32 v15, v3, v5
	v_mul_hi_u32 v16, v4, v9
	v_mul_lo_u32 v9, v4, v9
	v_mul_hi_u32 v17, v4, v5
	v_mul_lo_u32 v5, v4, v5
	v_add_co_u32 v11, vcc_lo, v11, v14
	v_add_co_ci_u32_e32 v14, vcc_lo, 0, v15, vcc_lo
	v_add_co_u32 v9, vcc_lo, v11, v9
	v_add_co_ci_u32_e32 v9, vcc_lo, v14, v16, vcc_lo
	v_add_co_ci_u32_e32 v11, vcc_lo, 0, v17, vcc_lo
	v_add_co_u32 v5, vcc_lo, v9, v5
	v_add_co_ci_u32_e32 v9, vcc_lo, 0, v11, vcc_lo
	v_add_co_u32 v5, vcc_lo, v3, v5
	v_add_co_ci_u32_e32 v9, vcc_lo, v4, v9, vcc_lo
	v_mul_hi_u32 v11, v12, v5
	v_mad_u64_u32 v[14:15], null, v13, v5, 0
	v_mad_u64_u32 v[3:4], null, v12, v9, 0
	;; [unrolled: 1-line block ×3, first 2 shown]
	v_add_co_u32 v3, vcc_lo, v11, v3
	v_add_co_ci_u32_e32 v4, vcc_lo, 0, v4, vcc_lo
	v_add_co_u32 v3, vcc_lo, v3, v14
	v_add_co_ci_u32_e32 v3, vcc_lo, v4, v15, vcc_lo
	v_add_co_ci_u32_e32 v4, vcc_lo, 0, v17, vcc_lo
	v_add_co_u32 v5, vcc_lo, v3, v16
	v_add_co_ci_u32_e32 v9, vcc_lo, 0, v4, vcc_lo
	v_mul_lo_u32 v11, s25, v5
	v_mad_u64_u32 v[3:4], null, s24, v5, 0
	v_mul_lo_u32 v14, s24, v9
	v_sub_co_u32 v3, vcc_lo, v12, v3
	v_add3_u32 v4, v4, v14, v11
	v_sub_nc_u32_e32 v11, v13, v4
	v_subrev_co_ci_u32_e64 v11, s0, s25, v11, vcc_lo
	v_add_co_u32 v14, s0, v5, 2
	v_add_co_ci_u32_e64 v15, s0, 0, v9, s0
	v_sub_co_u32 v16, s0, v3, s24
	v_sub_co_ci_u32_e32 v4, vcc_lo, v13, v4, vcc_lo
	v_subrev_co_ci_u32_e64 v11, s0, 0, v11, s0
	v_cmp_le_u32_e32 vcc_lo, s24, v16
	v_cmp_eq_u32_e64 s0, s25, v4
	v_cndmask_b32_e64 v16, 0, -1, vcc_lo
	v_cmp_le_u32_e32 vcc_lo, s25, v11
	v_cndmask_b32_e64 v17, 0, -1, vcc_lo
	v_cmp_le_u32_e32 vcc_lo, s24, v3
	;; [unrolled: 2-line block ×3, first 2 shown]
	v_cndmask_b32_e64 v18, 0, -1, vcc_lo
	v_cmp_eq_u32_e32 vcc_lo, s25, v11
	v_cndmask_b32_e64 v3, v18, v3, s0
	v_cndmask_b32_e32 v11, v17, v16, vcc_lo
	v_add_co_u32 v16, vcc_lo, v5, 1
	v_add_co_ci_u32_e32 v17, vcc_lo, 0, v9, vcc_lo
	v_cmp_ne_u32_e32 vcc_lo, 0, v11
	v_cndmask_b32_e32 v4, v17, v15, vcc_lo
	v_cndmask_b32_e32 v11, v16, v14, vcc_lo
	v_cmp_ne_u32_e32 vcc_lo, 0, v3
	v_cndmask_b32_e32 v4, v9, v4, vcc_lo
	v_cndmask_b32_e32 v3, v5, v11, vcc_lo
.LBB0_4:                                ;   in Loop: Header=BB0_2 Depth=1
	s_andn2_saveexec_b32 s0, s1
	s_cbranch_execz .LBB0_6
; %bb.5:                                ;   in Loop: Header=BB0_2 Depth=1
	v_cvt_f32_u32_e32 v3, s24
	s_sub_i32 s1, 0, s24
	v_rcp_iflag_f32_e32 v3, v3
	v_mul_f32_e32 v3, 0x4f7ffffe, v3
	v_cvt_u32_f32_e32 v3, v3
	v_mul_lo_u32 v4, s1, v3
	v_mul_hi_u32 v4, v3, v4
	v_add_nc_u32_e32 v3, v3, v4
	v_mul_hi_u32 v3, v12, v3
	v_mul_lo_u32 v4, v3, s24
	v_add_nc_u32_e32 v5, 1, v3
	v_sub_nc_u32_e32 v4, v12, v4
	v_subrev_nc_u32_e32 v9, s24, v4
	v_cmp_le_u32_e32 vcc_lo, s24, v4
	v_cndmask_b32_e32 v4, v4, v9, vcc_lo
	v_cndmask_b32_e32 v3, v3, v5, vcc_lo
	v_cmp_le_u32_e32 vcc_lo, s24, v4
	v_add_nc_u32_e32 v5, 1, v3
	v_mov_b32_e32 v4, v10
	v_cndmask_b32_e32 v3, v3, v5, vcc_lo
.LBB0_6:                                ;   in Loop: Header=BB0_2 Depth=1
	s_or_b32 exec_lo, exec_lo, s0
	v_mul_lo_u32 v5, v4, s24
	v_mul_lo_u32 v9, v3, s25
	s_load_dwordx2 s[0:1], s[6:7], 0x0
	v_mad_u64_u32 v[14:15], null, v3, s24, 0
	s_load_dwordx2 s[24:25], s[2:3], 0x0
	s_add_u32 s22, s22, 1
	s_addc_u32 s23, s23, 0
	s_add_u32 s2, s2, 8
	s_addc_u32 s3, s3, 0
	s_add_u32 s6, s6, 8
	v_add3_u32 v5, v15, v9, v5
	v_sub_co_u32 v9, vcc_lo, v12, v14
	s_addc_u32 s7, s7, 0
	s_add_u32 s20, s20, 8
	v_sub_co_ci_u32_e32 v5, vcc_lo, v13, v5, vcc_lo
	s_addc_u32 s21, s21, 0
	s_waitcnt lgkmcnt(0)
	v_mul_lo_u32 v11, s0, v5
	v_mul_lo_u32 v12, s1, v9
	v_mad_u64_u32 v[6:7], null, s0, v9, v[6:7]
	v_mul_lo_u32 v5, s24, v5
	v_mul_lo_u32 v13, s25, v9
	v_mad_u64_u32 v[1:2], null, s24, v9, v[1:2]
	v_cmp_ge_u64_e64 s0, s[22:23], s[14:15]
	v_add3_u32 v7, v12, v7, v11
	v_add3_u32 v2, v13, v2, v5
	s_and_b32 vcc_lo, exec_lo, s0
	s_cbranch_vccnz .LBB0_8
; %bb.7:                                ;   in Loop: Header=BB0_2 Depth=1
	v_mov_b32_e32 v13, v4
	v_mov_b32_e32 v12, v3
	s_branch .LBB0_2
.LBB0_8:
	s_load_dwordx2 s[0:1], s[4:5], 0x28
	v_mul_hi_u32 v5, 0xaaaaaaab, v8
	v_mul_hi_u32 v9, 0x3531ded, v0
	s_lshl_b64 s[4:5], s[14:15], 3
	s_add_u32 s2, s18, s4
	s_addc_u32 s3, s19, s5
	v_lshrrev_b32_e32 v5, 1, v5
	v_lshl_add_u32 v5, v5, 1, v5
	v_sub_nc_u32_e32 v8, v8, v5
	s_waitcnt lgkmcnt(0)
	v_cmp_gt_u64_e32 vcc_lo, s[0:1], v[3:4]
	v_cmp_le_u64_e64 s0, s[0:1], v[3:4]
                                        ; implicit-def: $vgpr5
	s_and_saveexec_b32 s1, s0
	s_xor_b32 s0, exec_lo, s1
; %bb.9:
	v_mul_u32_u24_e32 v5, 0x4d, v9
                                        ; implicit-def: $vgpr9
                                        ; implicit-def: $vgpr6_vgpr7
	v_sub_nc_u32_e32 v5, v0, v5
                                        ; implicit-def: $vgpr0
; %bb.10:
	s_or_saveexec_b32 s1, s0
	v_mul_u32_u24_e32 v8, 0x1cf, v8
	v_lshlrev_b32_e32 v22, 2, v8
	s_xor_b32 exec_lo, exec_lo, s1
	s_cbranch_execz .LBB0_12
; %bb.11:
	s_add_u32 s4, s16, s4
	s_addc_u32 s5, s17, s5
	v_lshlrev_b64 v[6:7], 2, v[6:7]
	s_load_dwordx2 s[4:5], s[4:5], 0x0
	s_waitcnt lgkmcnt(0)
	v_mul_lo_u32 v5, s5, v3
	v_mul_lo_u32 v8, s4, v4
	v_mad_u64_u32 v[10:11], null, s4, v3, 0
	v_add3_u32 v11, v11, v8, v5
	v_mul_u32_u24_e32 v5, 0x4d, v9
	v_lshlrev_b64 v[8:9], 2, v[10:11]
	v_sub_nc_u32_e32 v5, v0, v5
	v_add_co_u32 v0, s0, s8, v8
	v_add_co_ci_u32_e64 v8, s0, s9, v9, s0
	v_lshlrev_b32_e32 v9, 2, v5
	v_add_co_u32 v0, s0, v0, v6
	v_add_co_ci_u32_e64 v7, s0, v8, v7, s0
	v_add_co_u32 v6, s0, v0, v9
	v_add_co_ci_u32_e64 v7, s0, 0, v7, s0
	s_clause 0x5
	global_load_dword v0, v[6:7], off
	global_load_dword v8, v[6:7], off offset:308
	global_load_dword v10, v[6:7], off offset:616
	;; [unrolled: 1-line block ×5, first 2 shown]
	v_add3_u32 v7, 0, v22, v9
	v_add_nc_u32_e32 v9, 0x400, v7
	s_waitcnt vmcnt(4)
	ds_write2_b32 v7, v0, v8 offset1:77
	s_waitcnt vmcnt(2)
	ds_write2_b32 v7, v10, v11 offset0:154 offset1:231
	s_waitcnt vmcnt(0)
	ds_write2_b32 v9, v12, v6 offset0:52 offset1:129
.LBB0_12:
	s_or_b32 exec_lo, exec_lo, s1
	v_lshlrev_b32_e32 v19, 2, v5
	s_waitcnt lgkmcnt(0)
	s_barrier
	buffer_gl0_inv
	s_mov_b32 s1, exec_lo
	v_add_nc_u32_e32 v6, 0, v19
	v_add_nc_u32_e32 v20, v6, v22
	;; [unrolled: 1-line block ×3, first 2 shown]
	ds_read2_b32 v[12:13], v20 offset0:210 offset1:252
	ds_read2_b32 v[16:17], v20 offset0:42 offset1:84
	;; [unrolled: 1-line block ×5, first 2 shown]
	v_add_nc_u32_e32 v0, 0, v22
	v_add_nc_u32_e32 v18, v0, v19
	ds_read_b32 v23, v18
	s_waitcnt lgkmcnt(0)
	s_barrier
	buffer_gl0_inv
	v_pk_add_f16 v24, v12, v13 neg_lo:[0,1] neg_hi:[0,1]
	v_pk_add_f16 v25, v13, v12
	v_pk_add_f16 v32, v16, v9 neg_lo:[0,1] neg_hi:[0,1]
	v_pk_add_f16 v29, v9, v16
	;; [unrolled: 2-line block ×3, first 2 shown]
	v_pk_add_f16 v30, v14, v11 neg_lo:[0,1] neg_hi:[0,1]
	v_pk_mul_f16 v7, 0xb482, v32 op_sel_hi:[0,1]
	v_pk_add_f16 v27, v11, v14
	v_pk_mul_f16 v21, 0x3853, v31 op_sel_hi:[0,1]
	v_pk_add_f16 v33, v15, v10 neg_lo:[0,1] neg_hi:[0,1]
	v_pk_add_f16 v26, v10, v15
	v_pk_fma_f16 v39, 0xbbad, v29, v7 op_sel:[0,0,1] op_sel_hi:[0,1,0]
	v_pk_fma_f16 v41, 0xbbad, v29, v7 op_sel:[0,0,1] op_sel_hi:[0,1,0] neg_lo:[0,0,1] neg_hi:[0,0,1]
	v_pk_mul_f16 v7, 0xba0c, v30 op_sel_hi:[0,1]
	v_pk_fma_f16 v38, 0x3abb, v28, v21 op_sel:[0,0,1] op_sel_hi:[0,1,0]
	v_pk_fma_f16 v40, 0x3abb, v28, v21 op_sel:[0,0,1] op_sel_hi:[0,1,0] neg_lo:[0,0,1] neg_hi:[0,0,1]
	v_add_f16_e32 v21, v23, v39
	v_add_f16_sdwa v34, v23, v41 dst_sel:DWORD dst_unused:UNUSED_PAD src0_sel:WORD_1 src1_sel:WORD_1
	v_pk_mul_f16 v35, 0x3b47, v33 op_sel_hi:[0,1]
	v_pk_fma_f16 v42, 0xb93d, v27, v7 op_sel:[0,0,1] op_sel_hi:[0,1,0]
	v_pk_fma_f16 v43, 0xb93d, v27, v7 op_sel:[0,0,1] op_sel_hi:[0,1,0] neg_lo:[0,0,1] neg_hi:[0,0,1]
	v_add_f16_e32 v7, v38, v21
	v_add_f16_sdwa v21, v40, v34 dst_sel:DWORD dst_unused:UNUSED_PAD src0_sel:WORD_1 src1_sel:DWORD
	v_pk_mul_f16 v44, 0xbbeb, v24 op_sel_hi:[0,1]
	v_pk_fma_f16 v36, 0x36a6, v26, v35 op_sel:[0,0,1] op_sel_hi:[0,1,0]
	v_pk_fma_f16 v37, 0x36a6, v26, v35 op_sel:[0,0,1] op_sel_hi:[0,1,0] neg_lo:[0,0,1] neg_hi:[0,0,1]
	v_add_f16_e32 v7, v42, v7
	v_add_f16_sdwa v21, v43, v21 dst_sel:DWORD dst_unused:UNUSED_PAD src0_sel:WORD_1 src1_sel:DWORD
	v_pk_fma_f16 v34, 0xb08e, v25, v44 op_sel:[0,0,1] op_sel_hi:[0,1,0]
	v_pk_fma_f16 v35, 0xb08e, v25, v44 op_sel:[0,0,1] op_sel_hi:[0,1,0] neg_lo:[0,0,1] neg_hi:[0,0,1]
	v_add_f16_e32 v7, v36, v7
	v_add_f16_sdwa v21, v37, v21 dst_sel:DWORD dst_unused:UNUSED_PAD src0_sel:WORD_1 src1_sel:DWORD
	v_add_f16_e32 v7, v34, v7
	v_add_f16_sdwa v21, v35, v21 dst_sel:DWORD dst_unused:UNUSED_PAD src0_sel:WORD_1 src1_sel:DWORD
	v_cmpx_gt_u32_e32 42, v5
	s_cbranch_execz .LBB0_14
; %bb.13:
	v_mul_f16_e32 v44, 0xba0c, v32
	v_lshrrev_b32_e32 v45, 16, v29
	v_bfi_b32 v39, 0xffff, v41, v39
	v_mul_f16_e32 v41, 0x3beb, v31
	v_lshrrev_b32_e32 v46, 16, v28
	v_bfi_b32 v38, 0xffff, v40, v38
	v_fmamk_f16 v47, v45, 0xb93d, v44
	v_mul_f16_e32 v40, 0xb853, v30
	v_lshrrev_b32_e32 v48, 16, v27
	v_fmamk_f16 v49, v46, 0xb08e, v41
	v_bfi_b32 v42, 0xffff, v43, v42
	v_add_f16_sdwa v47, v23, v47 dst_sel:DWORD dst_unused:UNUSED_PAD src0_sel:WORD_1 src1_sel:DWORD
	v_mov_b32_e32 v43, 0xba0c
	v_mul_f16_e32 v50, 0xb482, v33
	v_fmamk_f16 v51, v48, 0x3abb, v40
	v_mov_b32_e32 v53, 0x3beb
	v_add_f16_e32 v47, v49, v47
	v_lshrrev_b32_e32 v49, 16, v26
	v_mul_f16_sdwa v52, v32, v43 dst_sel:DWORD dst_unused:UNUSED_PAD src0_sel:WORD_1 src1_sel:DWORD
	v_bfi_b32 v36, 0xffff, v37, v36
	v_mul_f16_sdwa v53, v31, v53 dst_sel:DWORD dst_unused:UNUSED_PAD src0_sel:WORD_1 src1_sel:DWORD
	v_add_f16_e32 v37, v51, v47
	v_fmamk_f16 v47, v49, 0xbbad, v50
	v_fma_f16 v51, v29, 0xb93d, -v52
	v_mov_b32_e32 v54, 0xb853
	v_bfi_b32 v34, 0xffff, v35, v34
	v_mov_b32_e32 v55, 0xb482
	v_add_f16_e32 v35, v47, v37
	v_add_f16_e32 v37, v23, v51
	v_fma_f16 v47, v28, 0xb08e, -v53
	v_mul_f16_sdwa v51, v30, v54 dst_sel:DWORD dst_unused:UNUSED_PAD src0_sel:WORD_1 src1_sel:DWORD
	v_mul_f16_sdwa v58, v33, v55 dst_sel:DWORD dst_unused:UNUSED_PAD src0_sel:WORD_1 src1_sel:DWORD
	v_mov_b32_e32 v67, 0x3482
	v_mov_b32_e32 v59, 0x3b47
	v_add_f16_e32 v37, v47, v37
	v_fma_f16 v47, v27, 0x3abb, -v51
	v_fma_f16 v62, v26, 0xbbad, -v58
	v_mul_f16_sdwa v67, v31, v67 dst_sel:DWORD dst_unused:UNUSED_PAD src0_sel:WORD_1 src1_sel:DWORD
	v_mul_f16_e32 v56, 0x3b47, v24
	v_lshrrev_b32_e32 v57, 16, v25
	v_add_f16_e32 v37, v47, v37
	v_mov_b32_e32 v47, 0xbbeb
	v_mul_f16_sdwa v63, v24, v59 dst_sel:DWORD dst_unused:UNUSED_PAD src0_sel:WORD_1 src1_sel:DWORD
	v_fma_f16 v70, v28, 0xbbad, -v67
	v_mul_f16_sdwa v59, v30, v59 dst_sel:DWORD dst_unused:UNUSED_PAD src0_sel:WORD_1 src1_sel:DWORD
	v_add_f16_e32 v37, v62, v37
	v_mul_f16_sdwa v66, v32, v47 dst_sel:DWORD dst_unused:UNUSED_PAD src0_sel:WORD_1 src1_sel:DWORD
	v_fmamk_f16 v61, v57, 0x36a6, v56
	v_mul_f16_e32 v73, 0xbb47, v32
	v_mul_f16_sdwa v72, v33, v54 dst_sel:DWORD dst_unused:UNUSED_PAD src0_sel:WORD_1 src1_sel:DWORD
	v_mul_f16_e32 v75, 0xba0c, v31
	v_fma_f16 v62, v29, 0xb08e, -v66
	v_add_f16_e32 v35, v61, v35
	v_fma_f16 v61, v25, 0x36a6, -v63
	v_fma_f16 v76, v26, 0x3abb, -v72
	v_mul_f16_e32 v78, 0x3482, v30
	v_add_f16_e32 v62, v23, v62
	v_mul_f16_sdwa v54, v32, v54 dst_sel:DWORD dst_unused:UNUSED_PAD src0_sel:WORD_1 src1_sel:DWORD
	v_add_f16_e32 v37, v61, v37
	v_mov_b32_e32 v79, 0xbb47
	v_mul_f16_sdwa v77, v24, v43 dst_sel:DWORD dst_unused:UNUSED_PAD src0_sel:WORD_1 src1_sel:DWORD
	v_add_f16_e32 v62, v70, v62
	v_fma_f16 v70, v27, 0x36a6, -v59
	v_fma_f16 v81, v29, 0x3abb, -v54
	v_mul_f16_sdwa v79, v31, v79 dst_sel:DWORD dst_unused:UNUSED_PAD src0_sel:WORD_1 src1_sel:DWORD
	v_fma_f16 v80, v25, 0xb93d, -v77
	v_mul_f16_sdwa v47, v30, v47 dst_sel:DWORD dst_unused:UNUSED_PAD src0_sel:WORD_1 src1_sel:DWORD
	v_add_f16_e32 v62, v70, v62
	v_fmamk_f16 v70, v45, 0x36a6, v73
	v_mul_f16_e32 v60, 0xbbeb, v32
	v_fma_f16 v44, v45, 0xb93d, -v44
	v_mul_f16_sdwa v43, v33, v43 dst_sel:DWORD dst_unused:UNUSED_PAD src0_sel:WORD_1 src1_sel:DWORD
	v_add_f16_e32 v62, v76, v62
	v_add_f16_sdwa v61, v23, v70 dst_sel:DWORD dst_unused:UNUSED_PAD src0_sel:WORD_1 src1_sel:DWORD
	v_fmamk_f16 v70, v46, 0xb93d, v75
	v_mul_f16_e32 v76, 0x3beb, v33
	v_fmamk_f16 v64, v45, 0xb08e, v60
	v_add_f16_e32 v62, v80, v62
	v_fma_f16 v80, v27, 0xb08e, -v47
	v_add_f16_e32 v61, v70, v61
	v_fmamk_f16 v70, v48, 0xbbad, v78
	v_mul_f16_e32 v65, 0x3482, v31
	v_add_f16_sdwa v44, v23, v44 dst_sel:DWORD dst_unused:UNUSED_PAD src0_sel:WORD_1 src1_sel:DWORD
	v_fma_f16 v41, v46, 0xb08e, -v41
	v_fmac_f16_e32 v52, 0xb93d, v29
	v_add_f16_e32 v61, v70, v61
	v_fmamk_f16 v70, v49, 0xb08e, v76
	v_mul_f16_sdwa v55, v24, v55 dst_sel:DWORD dst_unused:UNUSED_PAD src0_sel:WORD_1 src1_sel:DWORD
	v_add_f16_sdwa v64, v23, v64 dst_sel:DWORD dst_unused:UNUSED_PAD src0_sel:WORD_1 src1_sel:DWORD
	v_fmamk_f16 v68, v46, 0xbbad, v65
	v_mul_f16_e32 v69, 0x3b47, v30
	v_add_f16_e32 v61, v70, v61
	v_add_f16_e32 v70, v23, v81
	v_fma_f16 v81, v28, 0x36a6, -v79
	v_add_f16_e32 v41, v41, v44
	v_fma_f16 v40, v48, 0x3abb, -v40
	v_add_f16_e32 v44, v23, v52
	v_fmac_f16_e32 v53, 0xb08e, v28
	v_add_f16_e32 v70, v81, v70
	v_add_f16_e32 v64, v68, v64
	v_fmamk_f16 v68, v48, 0x36a6, v69
	v_mul_f16_e32 v71, 0xb853, v33
	v_add_f16_e32 v40, v40, v41
	v_add_f16_e32 v70, v80, v70
	v_fma_f16 v80, v26, 0xb93d, -v43
	v_fma_f16 v41, v49, 0xbbad, -v50
	v_add_f16_e32 v44, v53, v44
	v_fmac_f16_e32 v51, 0x3abb, v27
	v_add_f16_e32 v64, v68, v64
	v_add_f16_e32 v52, v80, v70
	v_fma_f16 v70, v25, 0xbbad, -v55
	v_fmamk_f16 v68, v49, 0x3abb, v71
	v_mul_f16_e32 v74, 0xb93d, v57
	v_add_f16_e32 v40, v41, v40
	v_fma_f16 v41, v57, 0x36a6, -v56
	v_add_f16_e32 v50, v70, v52
	v_fma_f16 v52, v45, 0xb08e, -v60
	v_fma_f16 v45, v45, 0x36a6, -v73
	v_add_f16_e32 v44, v51, v44
	v_fmac_f16_e32 v58, 0xbbad, v26
	v_pk_add_f16 v16, v23, v16
	v_add_f16_sdwa v51, v23, v52 dst_sel:DWORD dst_unused:UNUSED_PAD src0_sel:WORD_1 src1_sel:DWORD
	v_fma_f16 v52, v46, 0xbbad, -v65
	v_fma_f16 v46, v46, 0xb93d, -v75
	v_add_f16_sdwa v45, v23, v45 dst_sel:DWORD dst_unused:UNUSED_PAD src0_sel:WORD_1 src1_sel:DWORD
	v_add_f16_e32 v64, v68, v64
	v_fmamk_f16 v68, v24, 0xba0c, v74
	v_add_f16_e32 v40, v41, v40
	v_add_f16_e32 v41, v58, v44
	v_add_f16_e32 v44, v52, v51
	v_fma_f16 v52, v48, 0x36a6, -v69
	v_add_f16_e32 v45, v46, v45
	v_fma_f16 v46, v48, 0xbbad, -v78
	v_pk_mul_f16 v48, 0x3abb36a6, v29
	v_pk_add_f16 v16, v16, v17
	v_fmac_f16_e32 v66, 0xb08e, v29
	v_add_f16_e32 v64, v68, v64
	v_mul_f16_e32 v68, 0x3853, v24
	v_add_f16_e32 v44, v52, v44
	v_pk_mul_f16 v52, 0x36a6b93d, v28
	v_add_f16_e32 v45, v46, v45
	v_fma_f16 v46, v49, 0xb08e, -v76
	v_pk_fma_f16 v53, 0xbb47b853, v32, v48 op_sel:[0,0,1] op_sel_hi:[1,1,0]
	v_pk_fma_f16 v32, 0xbb47b853, v32, v48 op_sel:[0,0,1] op_sel_hi:[1,1,0] neg_lo:[0,1,0] neg_hi:[0,1,0]
	v_pk_add_f16 v14, v16, v14
	v_add_f16_e32 v51, v23, v66
	v_fmac_f16_e32 v67, 0xbbad, v28
	v_fmamk_f16 v82, v57, 0x3abb, v68
	v_add_f16_e32 v45, v46, v45
	v_pk_fma_f16 v56, 0xba0cbb47, v31, v52 op_sel:[0,0,1] op_sel_hi:[1,1,0]
	v_pk_mul_f16 v58, 0xb08ebbad, v27
	v_fma_f16 v57, v57, 0x3abb, -v68
	v_pk_fma_f16 v31, 0xba0cbb47, v31, v52 op_sel:[0,0,1] op_sel_hi:[1,1,0] neg_lo:[0,1,0] neg_hi:[0,1,0]
	v_pk_add_f16 v14, v14, v15
	v_bfi_b32 v15, 0xffff, v53, v32
	v_add_f16_e32 v51, v67, v51
	v_fmac_f16_e32 v59, 0x36a6, v27
	v_alignbit_b32 v46, s0, v53, 16
	v_pk_fma_f16 v60, 0x3482bbeb, v30, v58 op_sel:[0,0,1] op_sel_hi:[1,1,0]
	v_add_f16_e32 v45, v57, v45
	v_pk_mul_f16 v57, 0xb93db08e, v26
	v_pk_fma_f16 v30, 0x3482bbeb, v30, v58 op_sel:[0,0,1] op_sel_hi:[1,1,0] neg_lo:[0,1,0] neg_hi:[0,1,0]
	v_pk_add_f16 v12, v14, v12
	v_pk_add_f16 v14, v23, v15 op_sel:[1,0] op_sel_hi:[0,1]
	v_bfi_b32 v15, 0xffff, v56, v31
	v_add_f16_e32 v51, v59, v51
	v_pk_add_f16 v46, v23, v46
	v_alignbit_b32 v59, s0, v56, 16
	v_pk_mul_f16 v48, 0xbbad3abb, v25
	v_fmac_f16_e32 v54, 0x3abb, v29
	v_pk_fma_f16 v29, 0x3bebba0c, v33, v57 op_sel:[0,0,1] op_sel_hi:[1,1,0]
	v_pk_fma_f16 v33, 0x3bebba0c, v33, v57 op_sel:[0,0,1] op_sel_hi:[1,1,0] neg_lo:[0,1,0] neg_hi:[0,1,0]
	v_pk_add_f16 v12, v12, v13
	v_pk_add_f16 v13, v15, v14
	v_bfi_b32 v14, 0xffff, v60, v30
	v_fmac_f16_e32 v72, 0x3abb, v26
	v_pk_add_f16 v46, v59, v46
	v_alignbit_b32 v59, s0, v60, 16
	v_add_f16_sdwa v52, v23, v32 dst_sel:DWORD dst_unused:UNUSED_PAD src0_sel:WORD_1 src1_sel:DWORD
	v_fmac_f16_e32 v79, 0x36a6, v28
	v_pk_fma_f16 v28, 0x3853b482, v24, v48 op_sel:[0,0,1] op_sel_hi:[1,1,0] neg_lo:[0,1,0] neg_hi:[0,1,0]
	v_pk_add_f16 v10, v12, v10
	v_pk_add_f16 v12, v14, v13
	v_bfi_b32 v13, 0xffff, v29, v33
	v_pk_fma_f16 v14, 0x3853b482, v24, v48 op_sel:[0,0,1] op_sel_hi:[1,1,0]
	v_add_f16_e32 v51, v72, v51
	v_fmac_f16_e32 v77, 0xb93d, v25
	v_pk_add_f16 v46, v59, v46
	v_add_f16_e32 v16, v31, v52
	v_add_f16_e32 v52, v23, v54
	v_pk_add_f16 v10, v10, v11
	v_pk_add_f16 v11, v13, v12
	v_bfi_b32 v12, 0xffff, v14, v28
	v_pk_add_f16 v13, v23, v39
	v_fma_f16 v49, v49, 0x3abb, -v71
	v_add_f16_e32 v17, v77, v51
	v_mul_f16_e32 v51, 0xba0c, v24
	v_pk_mul_f16 v59, 0x3853b482, v24
	v_lshlrev_b32_e32 v14, 16, v46
	v_add_f16_e32 v16, v30, v16
	v_add_f16_e32 v32, v79, v52
	v_fmac_f16_e32 v47, 0xb08e, v27
	v_pk_add_f16 v8, v10, v8
	v_pk_add_f16 v10, v12, v11
	;; [unrolled: 1-line block ×3, first 2 shown]
	v_pk_add_f16 v12, v74, v51 neg_lo:[0,1] neg_hi:[0,1]
	v_pk_add_f16 v13, v29, v14
	v_pack_b32_f16 v14, v49, v48
	v_bfi_b32 v23, 0xffff, v44, v59
	v_add_f16_e32 v16, v33, v16
	v_add_f16_e32 v27, v47, v32
	v_fmac_f16_e32 v43, 0xb93d, v26
	v_add_f16_e32 v61, v82, v61
	v_mul_u32_u24_e32 v24, 40, v5
	v_pk_add_f16 v11, v42, v11
	v_fmac_f16_e32 v63, 0x36a6, v25
	v_bfi_b32 v12, 0xffff, v12, v13
	v_pk_add_f16 v13, v14, v23
	v_add_f16_e32 v15, v28, v16
	v_add_f16_e32 v16, v43, v27
	v_fmac_f16_e32 v55, 0xbbad, v25
	v_add3_u32 v6, v6, v24, v22
	v_alignbit_b32 v24, v61, v10, 16
	v_pack_b32_f16 v10, v50, v10
	v_pk_add_f16 v8, v8, v9
	v_pk_add_f16 v9, v36, v11
	v_add_f16_e32 v41, v63, v41
	v_pk_add_f16 v11, v12, v13
	v_add_f16_e32 v16, v55, v16
	ds_write2_b32 v6, v10, v24 offset0:1 offset1:2
	v_pack_b32_f16 v10, v37, v35
	v_pack_b32_f16 v12, v62, v64
	v_pk_add_f16 v9, v34, v9
	v_perm_b32 v13, v21, v7, 0x5040100
	v_pack_b32_f16 v14, v41, v40
	v_alignbit_b32 v23, v45, v11, 16
	v_pack_b32_f16 v11, v17, v11
	v_pack_b32_f16 v15, v16, v15
	ds_write2_b32 v6, v12, v10 offset0:3 offset1:4
	ds_write2_b32 v6, v9, v13 offset0:5 offset1:6
	ds_write2_b32 v6, v8, v14 offset1:7
	ds_write2_b32 v6, v11, v23 offset0:8 offset1:9
	ds_write_b32 v6, v15 offset:40
.LBB0_14:
	s_or_b32 exec_lo, exec_lo, s1
	v_and_b32_e32 v6, 0xff, v5
	v_mov_b32_e32 v9, 5
	s_load_dwordx2 s[2:3], s[2:3], 0x0
	s_waitcnt lgkmcnt(0)
	s_barrier
	v_mul_lo_u16 v6, 0x75, v6
	buffer_gl0_inv
	v_add_nc_u32_e32 v23, 0x200, v20
	v_mov_b32_e32 v26, 2
	v_cmp_gt_u32_e64 s0, 0x42, v5
	v_lshrrev_b16 v6, 8, v6
	v_sub_nc_u16 v8, v5, v6
	v_lshrrev_b16 v8, 1, v8
	v_and_b32_e32 v8, 0x7f, v8
	v_add_nc_u16 v6, v8, v6
	v_lshrrev_b16 v6, 3, v6
	v_mul_lo_u16 v8, v6, 11
	v_and_b32_e32 v6, 0xffff, v6
	v_sub_nc_u16 v16, v5, v8
	v_mad_u32_u24 v6, 0x108, v6, 0
	v_mul_u32_u24_sdwa v8, v16, v9 dst_sel:DWORD dst_unused:UNUSED_PAD src0_sel:BYTE_0 src1_sel:DWORD
	v_lshlrev_b32_sdwa v16, v26, v16 dst_sel:DWORD dst_unused:UNUSED_PAD src0_sel:DWORD src1_sel:BYTE_0
	v_lshlrev_b32_e32 v12, 2, v8
	v_add3_u32 v32, v6, v16, v22
	s_clause 0x1
	global_load_dwordx4 v[8:11], v12, s[12:13]
	global_load_dword v17, v12, s[12:13] offset:16
	ds_read2_b32 v[12:13], v20 offset0:77 offset1:154
	ds_read_b32 v24, v18
	ds_read_b32 v25, v20 offset:1540
	ds_read2_b32 v[14:15], v23 offset0:103 offset1:180
	s_waitcnt vmcnt(0) lgkmcnt(0)
	s_barrier
	buffer_gl0_inv
	v_lshrrev_b32_e32 v28, 16, v12
	v_lshrrev_b32_e32 v26, 16, v13
	;; [unrolled: 1-line block ×6, first 2 shown]
	v_mul_f16_sdwa v6, v8, v28 dst_sel:DWORD dst_unused:UNUSED_PAD src0_sel:WORD_1 src1_sel:DWORD
	v_mul_f16_sdwa v16, v8, v12 dst_sel:DWORD dst_unused:UNUSED_PAD src0_sel:WORD_1 src1_sel:DWORD
	;; [unrolled: 1-line block ×10, first 2 shown]
	v_fma_f16 v6, v8, v12, -v6
	v_fmac_f16_e32 v16, v8, v28
	v_fma_f16 v8, v9, v13, -v22
	v_fmac_f16_e32 v33, v9, v26
	;; [unrolled: 2-line block ×5, first 2 shown]
	v_add_f16_e32 v22, v6, v9
	v_add_f16_e32 v28, v16, v35
	;; [unrolled: 1-line block ×5, first 2 shown]
	v_sub_f16_e32 v26, v35, v39
	v_sub_f16_e32 v9, v9, v11
	v_add_f16_e32 v13, v8, v10
	v_fmac_f16_e32 v6, -0.5, v25
	v_fmac_f16_e32 v16, -0.5, v29
	v_add_f16_e32 v15, v27, v33
	v_fmac_f16_e32 v27, -0.5, v17
	v_add_f16_e32 v17, v28, v39
	v_fmamk_f16 v28, v26, 0x3aee, v6
	v_fmac_f16_e32 v6, 0xbaee, v26
	v_fmamk_f16 v26, v9, 0xbaee, v16
	v_fmac_f16_e32 v16, 0x3aee, v9
	v_add_f16_e32 v12, v24, v8
	v_sub_f16_e32 v14, v33, v37
	v_sub_f16_e32 v8, v8, v10
	v_fmac_f16_e32 v24, -0.5, v13
	v_mul_f16_e32 v9, 0x3aee, v26
	v_mul_f16_e32 v30, 0xbaee, v28
	v_mul_f16_e32 v29, -0.5, v6
	v_mul_f16_e32 v31, -0.5, v16
	v_add_f16_e32 v10, v12, v10
	v_add_f16_e32 v15, v15, v37
	;; [unrolled: 1-line block ×3, first 2 shown]
	v_fmamk_f16 v22, v14, 0x3aee, v24
	v_fmamk_f16 v25, v8, 0xbaee, v27
	v_fmac_f16_e32 v9, 0.5, v28
	v_fmac_f16_e32 v30, 0.5, v26
	v_fmac_f16_e32 v24, 0xbaee, v14
	v_fmac_f16_e32 v27, 0x3aee, v8
	;; [unrolled: 1-line block ×4, first 2 shown]
	v_add_f16_e32 v12, v10, v11
	v_add_f16_e32 v13, v15, v17
	v_sub_f16_e32 v8, v10, v11
	v_add_f16_e32 v10, v22, v9
	v_add_f16_e32 v16, v25, v30
	v_sub_f16_e32 v14, v15, v17
	;; [unrolled: 3-line block ×3, first 2 shown]
	v_sub_f16_e32 v6, v24, v29
	v_sub_f16_e32 v17, v25, v30
	;; [unrolled: 1-line block ×3, first 2 shown]
	v_pack_b32_f16 v26, v12, v13
	v_pack_b32_f16 v25, v10, v16
	;; [unrolled: 1-line block ×6, first 2 shown]
	ds_write2_b32 v32, v26, v25 offset1:11
	ds_write2_b32 v32, v27, v24 offset0:22 offset1:33
	ds_write2_b32 v32, v28, v29 offset0:44 offset1:55
	s_waitcnt lgkmcnt(0)
	s_barrier
	buffer_gl0_inv
	s_and_saveexec_b32 s1, s0
	s_cbranch_execz .LBB0_16
; %bb.15:
	v_add_nc_u32_e32 v6, 0x400, v20
	ds_read_b32 v12, v18
	ds_read2_b32 v[10:11], v20 offset0:66 offset1:132
	ds_read2_b32 v[8:9], v23 offset0:70 offset1:136
	;; [unrolled: 1-line block ×3, first 2 shown]
	s_waitcnt lgkmcnt(3)
	v_lshrrev_b32_e32 v13, 16, v12
	s_waitcnt lgkmcnt(2)
	v_lshrrev_b32_e32 v16, 16, v10
	v_lshrrev_b32_e32 v15, 16, v11
	s_waitcnt lgkmcnt(1)
	v_lshrrev_b32_e32 v14, 16, v8
	;; [unrolled: 3-line block ×3, first 2 shown]
	v_lshrrev_b32_e32 v21, 16, v7
.LBB0_16:
	s_or_b32 exec_lo, exec_lo, s1
	s_barrier
	buffer_gl0_inv
	s_and_saveexec_b32 s1, s0
	s_cbranch_execz .LBB0_18
; %bb.17:
	v_add_nc_u32_e32 v23, 0xffffffbe, v5
	v_mov_b32_e32 v24, 0
	v_add_nc_u32_e32 v29, 0x200, v20
	v_add_nc_u32_e32 v30, 0x400, v20
	v_cndmask_b32_e64 v23, v23, v5, s0
	v_mul_i32_i24_e32 v23, 6, v23
	v_lshlrev_b64 v[23:24], 2, v[23:24]
	v_add_co_u32 v27, s0, s12, v23
	v_add_co_ci_u32_e64 v28, s0, s13, v24, s0
	s_clause 0x1
	global_load_dwordx4 v[23:26], v[27:28], off offset:220
	global_load_dwordx2 v[27:28], v[27:28], off offset:236
	s_waitcnt vmcnt(1)
	v_mul_f16_sdwa v31, v16, v23 dst_sel:DWORD dst_unused:UNUSED_PAD src0_sel:DWORD src1_sel:WORD_1
	s_waitcnt vmcnt(0)
	v_mul_f16_sdwa v32, v21, v28 dst_sel:DWORD dst_unused:UNUSED_PAD src0_sel:DWORD src1_sel:WORD_1
	v_mul_f16_sdwa v35, v15, v24 dst_sel:DWORD dst_unused:UNUSED_PAD src0_sel:DWORD src1_sel:WORD_1
	v_mul_f16_sdwa v36, v22, v27 dst_sel:DWORD dst_unused:UNUSED_PAD src0_sel:DWORD src1_sel:WORD_1
	v_mul_f16_sdwa v37, v7, v28 dst_sel:DWORD dst_unused:UNUSED_PAD src0_sel:DWORD src1_sel:WORD_1
	v_mul_f16_sdwa v38, v10, v23 dst_sel:DWORD dst_unused:UNUSED_PAD src0_sel:DWORD src1_sel:WORD_1
	v_mul_f16_sdwa v41, v6, v27 dst_sel:DWORD dst_unused:UNUSED_PAD src0_sel:DWORD src1_sel:WORD_1
	v_mul_f16_sdwa v42, v11, v24 dst_sel:DWORD dst_unused:UNUSED_PAD src0_sel:DWORD src1_sel:WORD_1
	v_mul_f16_sdwa v33, v17, v26 dst_sel:DWORD dst_unused:UNUSED_PAD src0_sel:DWORD src1_sel:WORD_1
	v_mul_f16_sdwa v34, v14, v25 dst_sel:DWORD dst_unused:UNUSED_PAD src0_sel:DWORD src1_sel:WORD_1
	v_mul_f16_sdwa v39, v8, v25 dst_sel:DWORD dst_unused:UNUSED_PAD src0_sel:DWORD src1_sel:WORD_1
	v_mul_f16_sdwa v40, v9, v26 dst_sel:DWORD dst_unused:UNUSED_PAD src0_sel:DWORD src1_sel:WORD_1
	v_fma_f16 v10, v10, v23, -v31
	v_fma_f16 v7, v7, v28, -v32
	;; [unrolled: 1-line block ×4, first 2 shown]
	v_fmac_f16_e32 v37, v21, v28
	v_fmac_f16_e32 v38, v16, v23
	;; [unrolled: 1-line block ×4, first 2 shown]
	v_fma_f16 v9, v9, v26, -v33
	v_fma_f16 v8, v8, v25, -v34
	v_fmac_f16_e32 v39, v14, v25
	v_fmac_f16_e32 v40, v17, v26
	v_sub_f16_e32 v14, v10, v7
	v_sub_f16_e32 v16, v11, v6
	v_add_f16_e32 v17, v38, v37
	v_add_f16_e32 v22, v42, v41
	;; [unrolled: 1-line block ×4, first 2 shown]
	v_sub_f16_e32 v15, v9, v8
	v_add_f16_e32 v21, v39, v40
	v_add_f16_e32 v8, v8, v9
	v_sub_f16_e32 v9, v38, v37
	v_sub_f16_e32 v10, v40, v39
	v_sub_f16_e32 v11, v42, v41
	v_add_f16_e32 v27, v22, v17
	v_add_f16_e32 v32, v6, v7
	v_sub_f16_e32 v23, v14, v15
	v_sub_f16_e32 v24, v15, v16
	v_add_f16_e32 v15, v15, v16
	v_sub_f16_e32 v25, v17, v21
	v_sub_f16_e32 v26, v21, v22
	;; [unrolled: 1-line block ×6, first 2 shown]
	v_add_f16_e32 v10, v10, v11
	v_sub_f16_e32 v16, v16, v14
	v_sub_f16_e32 v6, v6, v7
	;; [unrolled: 1-line block ×3, first 2 shown]
	v_add_f16_e32 v21, v21, v27
	v_add_f16_e32 v8, v8, v32
	v_sub_f16_e32 v17, v22, v17
	v_mul_f16_e32 v11, 0xb846, v24
	v_add_f16_e32 v14, v15, v14
	v_mul_f16_e32 v15, 0x3a52, v25
	v_mul_f16_e32 v24, 0x3a52, v28
	;; [unrolled: 1-line block ×3, first 2 shown]
	v_add_f16_e32 v9, v10, v9
	v_mul_f16_e32 v10, 0x3b00, v16
	v_mul_f16_e32 v28, 0x3b00, v7
	v_add_f16_e32 v13, v13, v21
	v_add_f16_e32 v12, v12, v8
	v_mul_f16_e32 v22, 0x2b26, v26
	v_mul_f16_e32 v25, 0x2b26, v31
	v_fmamk_f16 v32, v23, 0x3574, v11
	v_fmamk_f16 v26, v26, 0x2b26, v15
	;; [unrolled: 1-line block ×4, first 2 shown]
	v_fma_f16 v10, v23, 0xb574, -v10
	v_fma_f16 v15, v17, 0xb9e0, -v15
	;; [unrolled: 1-line block ×6, first 2 shown]
	v_fmamk_f16 v16, v21, 0xbcab, v13
	v_fmamk_f16 v8, v8, 0xbcab, v12
	v_fma_f16 v17, v17, 0x39e0, -v22
	v_fma_f16 v6, v6, 0x39e0, -v25
	v_fmac_f16_e32 v32, 0x370e, v14
	v_fmac_f16_e32 v34, 0x370e, v9
	v_fmac_f16_e32 v10, 0x370e, v14
	v_fmac_f16_e32 v24, 0x370e, v9
	v_fmac_f16_e32 v11, 0x370e, v14
	v_fmac_f16_e32 v7, 0x370e, v9
	v_pack_b32_f16 v9, v12, v13
	v_add_f16_e32 v12, v26, v16
	v_add_f16_e32 v13, v31, v8
	;; [unrolled: 1-line block ×7, first 2 shown]
	v_sub_f16_e32 v17, v13, v34
	v_add_f16_e32 v21, v10, v14
	v_sub_f16_e32 v10, v14, v10
	v_sub_f16_e32 v12, v12, v32
	v_add_f16_e32 v13, v34, v13
	v_add_f16_e32 v14, v24, v15
	v_sub_f16_e32 v22, v16, v11
	v_add_f16_e32 v11, v11, v16
	v_sub_f16_e32 v16, v6, v7
	;; [unrolled: 2-line block ×3, first 2 shown]
	v_pack_b32_f16 v12, v13, v12
	v_pack_b32_f16 v10, v14, v10
	;; [unrolled: 1-line block ×6, first 2 shown]
	ds_write_b32 v18, v9
	ds_write2_b32 v20, v12, v10 offset0:66 offset1:132
	ds_write2_b32 v29, v11, v6 offset0:70 offset1:136
	;; [unrolled: 1-line block ×3, first 2 shown]
.LBB0_18:
	s_or_b32 exec_lo, exec_lo, s1
	s_waitcnt lgkmcnt(0)
	s_barrier
	buffer_gl0_inv
	ds_read_b32 v12, v18
	v_sub_nc_u32_e32 v8, v0, v19
	s_mov_b32 s1, exec_lo
                                        ; implicit-def: $vgpr10
                                        ; implicit-def: $vgpr9
                                        ; implicit-def: $vgpr11
                                        ; implicit-def: $vgpr6_vgpr7
	v_cmpx_ne_u32_e32 0, v5
	s_xor_b32 s1, exec_lo, s1
	s_cbranch_execz .LBB0_20
; %bb.19:
	v_mov_b32_e32 v6, 0
	v_lshlrev_b64 v[9:10], 2, v[5:6]
	v_add_co_u32 v9, s0, s12, v9
	v_add_co_ci_u32_e64 v10, s0, s13, v10, s0
	global_load_dword v7, v[9:10], off offset:1804
	ds_read_b32 v9, v8 offset:1848
	s_waitcnt lgkmcnt(0)
	v_pk_add_f16 v10, v12, v9 neg_lo:[0,1] neg_hi:[0,1]
	v_pk_add_f16 v9, v9, v12
	v_bfi_b32 v11, 0xffff, v10, v9
	v_bfi_b32 v9, 0xffff, v9, v10
	v_pk_mul_f16 v11, v11, 0.5 op_sel_hi:[1,0]
	v_pk_mul_f16 v12, v9, 0.5 op_sel_hi:[1,0]
	s_waitcnt vmcnt(0)
	v_pk_mul_f16 v10, v7, v11 op_sel:[1,0]
	v_pk_mul_f16 v7, v7, v11 op_sel_hi:[0,1]
	v_pk_fma_f16 v9, v9, 0.5, v10 op_sel_hi:[1,0,1]
	v_sub_f16_e32 v11, v12, v10
	v_sub_f16_sdwa v10, v10, v12 dst_sel:DWORD dst_unused:UNUSED_PAD src0_sel:WORD_1 src1_sel:WORD_1
	v_pk_add_f16 v12, v9, v7 op_sel:[0,1] op_sel_hi:[1,0]
	v_pk_add_f16 v13, v9, v7 op_sel:[0,1] op_sel_hi:[1,0] neg_lo:[0,1] neg_hi:[0,1]
	v_sub_f16_sdwa v9, v11, v7 dst_sel:DWORD dst_unused:UNUSED_PAD src0_sel:DWORD src1_sel:WORD_1
	v_sub_f16_e32 v11, v10, v7
	v_mov_b32_e32 v7, v6
	v_mov_b32_e32 v6, v5
	v_bfi_b32 v10, 0xffff, v12, v13
                                        ; implicit-def: $vgpr12
.LBB0_20:
	s_andn2_saveexec_b32 s0, s1
	s_cbranch_execz .LBB0_22
; %bb.21:
	ds_read_u16 v6, v0 offset:926
	s_waitcnt lgkmcnt(1)
	v_alignbit_b32 v7, s0, v12, 16
	v_sub_f16_sdwa v9, v12, v12 dst_sel:DWORD dst_unused:UNUSED_PAD src0_sel:DWORD src1_sel:WORD_1
	v_mov_b32_e32 v11, 0
	v_pk_add_f16 v7, v7, v12
	v_pack_b32_f16 v10, v7, 0
	s_waitcnt lgkmcnt(0)
	v_xor_b32_e32 v12, 0x8000, v6
	v_mov_b32_e32 v6, 0
	v_mov_b32_e32 v7, 0
	ds_write_b16 v0, v12 offset:926
.LBB0_22:
	s_or_b32 exec_lo, exec_lo, s0
	v_lshlrev_b64 v[6:7], 2, v[6:7]
	s_add_u32 s0, s12, 0x70c
	s_addc_u32 s1, s13, 0
	v_add_co_u32 v6, s0, s0, v6
	v_add_co_ci_u32_e64 v7, s0, s1, v7, s0
	s_waitcnt lgkmcnt(0)
	s_clause 0x1
	global_load_dword v12, v[6:7], off offset:308
	global_load_dword v6, v[6:7], off offset:616
	ds_write_b16 v8, v11 offset:1850
	ds_write_b32 v18, v10
	ds_write_b16 v8, v9 offset:1848
	ds_read_b32 v7, v18 offset:308
	ds_read_b32 v9, v8 offset:1540
	s_waitcnt lgkmcnt(0)
	v_pk_add_f16 v10, v7, v9 neg_lo:[0,1] neg_hi:[0,1]
	v_pk_add_f16 v7, v7, v9
	v_bfi_b32 v9, 0xffff, v10, v7
	v_bfi_b32 v7, 0xffff, v7, v10
	v_pk_mul_f16 v9, v9, 0.5 op_sel_hi:[1,0]
	v_pk_mul_f16 v11, v7, 0.5 op_sel_hi:[1,0]
	s_waitcnt vmcnt(1)
	v_pk_mul_f16 v10, v12, v9 op_sel:[1,0]
	v_pk_mul_f16 v9, v12, v9 op_sel_hi:[0,1]
	v_pk_fma_f16 v7, v7, 0.5, v10 op_sel_hi:[1,0,1]
	v_sub_f16_sdwa v12, v10, v11 dst_sel:DWORD dst_unused:UNUSED_PAD src0_sel:WORD_1 src1_sel:WORD_1
	v_sub_f16_e32 v10, v11, v10
	v_pk_add_f16 v13, v7, v9 op_sel:[0,1] op_sel_hi:[1,0]
	v_pk_add_f16 v7, v7, v9 op_sel:[0,1] op_sel_hi:[1,0] neg_lo:[0,1] neg_hi:[0,1]
	v_sub_f16_e32 v11, v12, v9
	v_sub_f16_sdwa v9, v10, v9 dst_sel:DWORD dst_unused:UNUSED_PAD src0_sel:DWORD src1_sel:WORD_1
	v_bfi_b32 v7, 0xffff, v13, v7
	ds_write_b16 v8, v11 offset:1542
	ds_write_b32 v18, v7 offset:308
	ds_write_b16 v8, v9 offset:1540
	ds_read_b32 v7, v18 offset:616
	ds_read_b32 v9, v8 offset:1232
	s_waitcnt lgkmcnt(0)
	v_pk_add_f16 v10, v7, v9 neg_lo:[0,1] neg_hi:[0,1]
	v_pk_add_f16 v7, v7, v9
	v_bfi_b32 v9, 0xffff, v10, v7
	v_bfi_b32 v7, 0xffff, v7, v10
	v_pk_mul_f16 v9, v9, 0.5 op_sel_hi:[1,0]
	v_pk_mul_f16 v7, v7, 0.5 op_sel_hi:[1,0]
	s_waitcnt vmcnt(0)
	v_pk_mul_f16 v11, v6, v9 op_sel_hi:[0,1]
	v_pk_fma_f16 v10, v6, v9, v7 op_sel:[1,0,0]
	v_pk_fma_f16 v12, v6, v9, v7 op_sel:[1,0,0] neg_lo:[1,0,0] neg_hi:[1,0,0]
	v_pk_fma_f16 v6, v6, v9, v7 op_sel:[1,0,0] neg_lo:[0,0,1] neg_hi:[0,0,1]
	v_pk_add_f16 v7, v10, v11 op_sel:[0,1] op_sel_hi:[1,0]
	v_pk_add_f16 v9, v10, v11 op_sel:[0,1] op_sel_hi:[1,0] neg_lo:[0,1] neg_hi:[0,1]
	v_pk_add_f16 v10, v12, v11 op_sel:[0,1] op_sel_hi:[1,0] neg_lo:[0,1] neg_hi:[0,1]
	;; [unrolled: 1-line block ×3, first 2 shown]
	v_bfi_b32 v7, 0xffff, v7, v9
	v_bfi_b32 v6, 0xffff, v10, v6
	ds_write_b32 v18, v7 offset:616
	ds_write_b32 v8, v6 offset:1232
	s_waitcnt lgkmcnt(0)
	s_barrier
	buffer_gl0_inv
	s_and_saveexec_b32 s0, vcc_lo
	s_cbranch_execz .LBB0_25
; %bb.23:
	v_mul_lo_u32 v6, s3, v3
	v_mul_lo_u32 v4, s2, v4
	v_mad_u64_u32 v[7:8], null, s2, v3, 0
	v_lshl_add_u32 v3, v5, 2, v0
	v_lshlrev_b64 v[0:1], 2, v[1:2]
	v_add_nc_u32_e32 v9, 0x4d, v5
	v_add_nc_u32_e32 v11, 0x9a, v5
	v_add_nc_u32_e32 v17, 0x181, v5
	ds_read2_b32 v[13:14], v3 offset1:77
	v_add3_u32 v8, v8, v4, v6
	v_mov_b32_e32 v6, 0
	v_lshlrev_b64 v[7:8], 2, v[7:8]
	v_mov_b32_e32 v10, v6
	v_lshlrev_b64 v[15:16], 2, v[5:6]
	v_mov_b32_e32 v12, v6
	v_mov_b32_e32 v18, v6
	v_add_co_u32 v2, vcc_lo, s10, v7
	v_add_co_ci_u32_e32 v4, vcc_lo, s11, v8, vcc_lo
	v_lshlrev_b64 v[7:8], 2, v[9:10]
	v_add_co_u32 v0, vcc_lo, v2, v0
	v_add_co_ci_u32_e32 v1, vcc_lo, v4, v1, vcc_lo
	v_add_nc_u32_e32 v2, 0x400, v3
	v_add_co_u32 v9, vcc_lo, v0, v15
	v_add_co_ci_u32_e32 v10, vcc_lo, v1, v16, vcc_lo
	v_add_co_u32 v7, vcc_lo, v0, v7
	v_add_co_ci_u32_e32 v8, vcc_lo, v1, v8, vcc_lo
	ds_read2_b32 v[15:16], v3 offset0:154 offset1:231
	s_waitcnt lgkmcnt(1)
	global_store_dword v[9:10], v13, off
	global_store_dword v[7:8], v14, off
	v_add_nc_u32_e32 v9, 0xe7, v5
	v_mov_b32_e32 v10, v6
	v_lshlrev_b64 v[7:8], 2, v[11:12]
	v_add_nc_u32_e32 v11, 0x134, v5
	ds_read2_b32 v[13:14], v2 offset0:52 offset1:129
	v_lshlrev_b64 v[17:18], 2, v[17:18]
	v_lshlrev_b64 v[9:10], 2, v[9:10]
	v_add_co_u32 v7, vcc_lo, v0, v7
	v_lshlrev_b64 v[11:12], 2, v[11:12]
	v_add_co_ci_u32_e32 v8, vcc_lo, v1, v8, vcc_lo
	v_add_co_u32 v9, vcc_lo, v0, v9
	v_add_co_ci_u32_e32 v10, vcc_lo, v1, v10, vcc_lo
	v_add_co_u32 v11, vcc_lo, v0, v11
	v_add_co_ci_u32_e32 v12, vcc_lo, v1, v12, vcc_lo
	v_add_co_u32 v17, vcc_lo, v0, v17
	v_add_co_ci_u32_e32 v18, vcc_lo, v1, v18, vcc_lo
	v_cmp_eq_u32_e32 vcc_lo, 0x4c, v5
	s_waitcnt lgkmcnt(1)
	global_store_dword v[7:8], v15, off
	global_store_dword v[9:10], v16, off
	s_waitcnt lgkmcnt(0)
	global_store_dword v[11:12], v13, off
	global_store_dword v[17:18], v14, off
	s_and_b32 exec_lo, exec_lo, vcc_lo
	s_cbranch_execz .LBB0_25
; %bb.24:
	ds_read_b32 v2, v3 offset:1544
	s_waitcnt lgkmcnt(0)
	global_store_dword v[0:1], v2, off offset:1848
.LBB0_25:
	s_endpgm
	.section	.rodata,"a",@progbits
	.p2align	6, 0x0
	.amdhsa_kernel fft_rtc_fwd_len462_factors_11_6_7_wgs_231_tpt_77_half_op_CI_CI_unitstride_sbrr_R2C_dirReg
		.amdhsa_group_segment_fixed_size 0
		.amdhsa_private_segment_fixed_size 0
		.amdhsa_kernarg_size 104
		.amdhsa_user_sgpr_count 6
		.amdhsa_user_sgpr_private_segment_buffer 1
		.amdhsa_user_sgpr_dispatch_ptr 0
		.amdhsa_user_sgpr_queue_ptr 0
		.amdhsa_user_sgpr_kernarg_segment_ptr 1
		.amdhsa_user_sgpr_dispatch_id 0
		.amdhsa_user_sgpr_flat_scratch_init 0
		.amdhsa_user_sgpr_private_segment_size 0
		.amdhsa_wavefront_size32 1
		.amdhsa_uses_dynamic_stack 0
		.amdhsa_system_sgpr_private_segment_wavefront_offset 0
		.amdhsa_system_sgpr_workgroup_id_x 1
		.amdhsa_system_sgpr_workgroup_id_y 0
		.amdhsa_system_sgpr_workgroup_id_z 0
		.amdhsa_system_sgpr_workgroup_info 0
		.amdhsa_system_vgpr_workitem_id 0
		.amdhsa_next_free_vgpr 83
		.amdhsa_next_free_sgpr 27
		.amdhsa_reserve_vcc 1
		.amdhsa_reserve_flat_scratch 0
		.amdhsa_float_round_mode_32 0
		.amdhsa_float_round_mode_16_64 0
		.amdhsa_float_denorm_mode_32 3
		.amdhsa_float_denorm_mode_16_64 3
		.amdhsa_dx10_clamp 1
		.amdhsa_ieee_mode 1
		.amdhsa_fp16_overflow 0
		.amdhsa_workgroup_processor_mode 1
		.amdhsa_memory_ordered 1
		.amdhsa_forward_progress 0
		.amdhsa_shared_vgpr_count 0
		.amdhsa_exception_fp_ieee_invalid_op 0
		.amdhsa_exception_fp_denorm_src 0
		.amdhsa_exception_fp_ieee_div_zero 0
		.amdhsa_exception_fp_ieee_overflow 0
		.amdhsa_exception_fp_ieee_underflow 0
		.amdhsa_exception_fp_ieee_inexact 0
		.amdhsa_exception_int_div_zero 0
	.end_amdhsa_kernel
	.text
.Lfunc_end0:
	.size	fft_rtc_fwd_len462_factors_11_6_7_wgs_231_tpt_77_half_op_CI_CI_unitstride_sbrr_R2C_dirReg, .Lfunc_end0-fft_rtc_fwd_len462_factors_11_6_7_wgs_231_tpt_77_half_op_CI_CI_unitstride_sbrr_R2C_dirReg
                                        ; -- End function
	.section	.AMDGPU.csdata,"",@progbits
; Kernel info:
; codeLenInByte = 6716
; NumSgprs: 29
; NumVgprs: 83
; ScratchSize: 0
; MemoryBound: 0
; FloatMode: 240
; IeeeMode: 1
; LDSByteSize: 0 bytes/workgroup (compile time only)
; SGPRBlocks: 3
; VGPRBlocks: 10
; NumSGPRsForWavesPerEU: 29
; NumVGPRsForWavesPerEU: 83
; Occupancy: 10
; WaveLimiterHint : 1
; COMPUTE_PGM_RSRC2:SCRATCH_EN: 0
; COMPUTE_PGM_RSRC2:USER_SGPR: 6
; COMPUTE_PGM_RSRC2:TRAP_HANDLER: 0
; COMPUTE_PGM_RSRC2:TGID_X_EN: 1
; COMPUTE_PGM_RSRC2:TGID_Y_EN: 0
; COMPUTE_PGM_RSRC2:TGID_Z_EN: 0
; COMPUTE_PGM_RSRC2:TIDIG_COMP_CNT: 0
	.text
	.p2alignl 6, 3214868480
	.fill 48, 4, 3214868480
	.type	__hip_cuid_292b8255c8114a46,@object ; @__hip_cuid_292b8255c8114a46
	.section	.bss,"aw",@nobits
	.globl	__hip_cuid_292b8255c8114a46
__hip_cuid_292b8255c8114a46:
	.byte	0                               ; 0x0
	.size	__hip_cuid_292b8255c8114a46, 1

	.ident	"AMD clang version 19.0.0git (https://github.com/RadeonOpenCompute/llvm-project roc-6.4.0 25133 c7fe45cf4b819c5991fe208aaa96edf142730f1d)"
	.section	".note.GNU-stack","",@progbits
	.addrsig
	.addrsig_sym __hip_cuid_292b8255c8114a46
	.amdgpu_metadata
---
amdhsa.kernels:
  - .args:
      - .actual_access:  read_only
        .address_space:  global
        .offset:         0
        .size:           8
        .value_kind:     global_buffer
      - .offset:         8
        .size:           8
        .value_kind:     by_value
      - .actual_access:  read_only
        .address_space:  global
        .offset:         16
        .size:           8
        .value_kind:     global_buffer
      - .actual_access:  read_only
        .address_space:  global
        .offset:         24
        .size:           8
        .value_kind:     global_buffer
      - .actual_access:  read_only
        .address_space:  global
        .offset:         32
        .size:           8
        .value_kind:     global_buffer
      - .offset:         40
        .size:           8
        .value_kind:     by_value
      - .actual_access:  read_only
        .address_space:  global
        .offset:         48
        .size:           8
        .value_kind:     global_buffer
      - .actual_access:  read_only
        .address_space:  global
        .offset:         56
        .size:           8
        .value_kind:     global_buffer
      - .offset:         64
        .size:           4
        .value_kind:     by_value
      - .actual_access:  read_only
        .address_space:  global
        .offset:         72
        .size:           8
        .value_kind:     global_buffer
      - .actual_access:  read_only
        .address_space:  global
        .offset:         80
        .size:           8
        .value_kind:     global_buffer
      - .actual_access:  read_only
        .address_space:  global
        .offset:         88
        .size:           8
        .value_kind:     global_buffer
      - .actual_access:  write_only
        .address_space:  global
        .offset:         96
        .size:           8
        .value_kind:     global_buffer
    .group_segment_fixed_size: 0
    .kernarg_segment_align: 8
    .kernarg_segment_size: 104
    .language:       OpenCL C
    .language_version:
      - 2
      - 0
    .max_flat_workgroup_size: 231
    .name:           fft_rtc_fwd_len462_factors_11_6_7_wgs_231_tpt_77_half_op_CI_CI_unitstride_sbrr_R2C_dirReg
    .private_segment_fixed_size: 0
    .sgpr_count:     29
    .sgpr_spill_count: 0
    .symbol:         fft_rtc_fwd_len462_factors_11_6_7_wgs_231_tpt_77_half_op_CI_CI_unitstride_sbrr_R2C_dirReg.kd
    .uniform_work_group_size: 1
    .uses_dynamic_stack: false
    .vgpr_count:     83
    .vgpr_spill_count: 0
    .wavefront_size: 32
    .workgroup_processor_mode: 1
amdhsa.target:   amdgcn-amd-amdhsa--gfx1030
amdhsa.version:
  - 1
  - 2
...

	.end_amdgpu_metadata
